;; amdgpu-corpus repo=ROCm/rocFFT kind=compiled arch=gfx1030 opt=O3
	.text
	.amdgcn_target "amdgcn-amd-amdhsa--gfx1030"
	.amdhsa_code_object_version 6
	.protected	bluestein_single_back_len605_dim1_sp_op_CI_CI ; -- Begin function bluestein_single_back_len605_dim1_sp_op_CI_CI
	.globl	bluestein_single_back_len605_dim1_sp_op_CI_CI
	.p2align	8
	.type	bluestein_single_back_len605_dim1_sp_op_CI_CI,@function
bluestein_single_back_len605_dim1_sp_op_CI_CI: ; @bluestein_single_back_len605_dim1_sp_op_CI_CI
; %bb.0:
	s_load_dwordx4 s[12:15], s[4:5], 0x28
	v_mul_u32_u24_e32 v1, 0x4a8, v0
	v_mov_b32_e32 v75, 0
	s_mov_b32 s0, exec_lo
	v_lshrrev_b32_e32 v1, 16, v1
	v_add_nc_u32_e32 v74, s6, v1
	s_waitcnt lgkmcnt(0)
	v_cmpx_gt_u64_e64 s[12:13], v[74:75]
	s_cbranch_execz .LBB0_10
; %bb.1:
	s_clause 0x1
	s_load_dwordx4 s[8:11], s[4:5], 0x18
	s_load_dwordx4 s[0:3], s[4:5], 0x0
	v_mul_lo_u16 v1, v1, 55
	s_load_dwordx2 s[4:5], s[4:5], 0x38
	v_sub_nc_u16 v14, v0, v1
	v_and_b32_e32 v100, 0xffff, v14
	v_lshlrev_b32_e32 v99, 3, v100
	s_waitcnt lgkmcnt(0)
	s_load_dwordx4 s[16:19], s[8:9], 0x0
	s_clause 0x4
	global_load_dwordx2 v[93:94], v99, s[0:1]
	global_load_dwordx2 v[91:92], v99, s[0:1] offset:440
	global_load_dwordx2 v[89:90], v99, s[0:1] offset:880
	global_load_dwordx2 v[83:84], v99, s[0:1] offset:1320
	global_load_dwordx2 v[85:86], v99, s[0:1] offset:1760
	v_add_co_u32 v103, s6, s0, v99
	v_add_co_ci_u32_e64 v104, null, s1, 0, s6
	s_waitcnt lgkmcnt(0)
	v_mad_u64_u32 v[0:1], null, s18, v74, 0
	v_mad_u64_u32 v[2:3], null, s16, v100, 0
	s_mul_i32 s0, s17, 0x1b8
	s_mul_hi_u32 s1, s16, 0x1b8
	s_mul_i32 s6, s16, 0x1b8
	s_add_i32 s1, s1, s0
	v_mad_u64_u32 v[4:5], null, s19, v74, v[1:2]
	v_mad_u64_u32 v[5:6], null, s17, v100, v[3:4]
	v_mov_b32_e32 v1, v4
	v_add_co_u32 v4, vcc_lo, 0x800, v103
	v_lshlrev_b64 v[0:1], 3, v[0:1]
	v_mov_b32_e32 v3, v5
	v_add_co_ci_u32_e32 v5, vcc_lo, 0, v104, vcc_lo
	s_clause 0x3
	global_load_dwordx2 v[87:88], v[4:5], off offset:152
	global_load_dwordx2 v[77:78], v[4:5], off offset:592
	;; [unrolled: 1-line block ×4, first 2 shown]
	v_lshlrev_b64 v[2:3], 3, v[2:3]
	v_add_co_u32 v0, vcc_lo, s14, v0
	v_add_co_ci_u32_e32 v1, vcc_lo, s15, v1, vcc_lo
	v_add_co_u32 v0, vcc_lo, v0, v2
	v_add_co_ci_u32_e32 v1, vcc_lo, v1, v3, vcc_lo
	;; [unrolled: 2-line block ×5, first 2 shown]
	s_clause 0x1
	global_load_dwordx2 v[0:1], v[0:1], off
	global_load_dwordx2 v[2:3], v[2:3], off
	v_add_co_u32 v8, vcc_lo, v6, s6
	v_add_co_ci_u32_e32 v9, vcc_lo, s1, v7, vcc_lo
	v_add_co_u32 v10, vcc_lo, v8, s6
	v_add_co_ci_u32_e32 v11, vcc_lo, s1, v9, vcc_lo
	s_clause 0x1
	global_load_dwordx2 v[6:7], v[6:7], off
	global_load_dwordx2 v[8:9], v[8:9], off
	v_add_co_u32 v12, vcc_lo, v10, s6
	v_add_co_ci_u32_e32 v13, vcc_lo, s1, v11, vcc_lo
	global_load_dwordx2 v[10:11], v[10:11], off
	v_add_co_u32 v15, vcc_lo, v12, s6
	v_add_co_ci_u32_e32 v16, vcc_lo, s1, v13, vcc_lo
	global_load_dwordx2 v[12:13], v[12:13], off
	v_add_co_u32 v17, vcc_lo, v15, s6
	v_add_co_ci_u32_e32 v18, vcc_lo, s1, v16, vcc_lo
	global_load_dwordx2 v[19:20], v[15:16], off
	v_add_co_u32 v15, vcc_lo, v17, s6
	v_add_co_ci_u32_e32 v16, vcc_lo, s1, v18, vcc_lo
	global_load_dwordx2 v[17:18], v[17:18], off
	v_add_co_u32 v21, vcc_lo, v15, s6
	v_add_co_ci_u32_e32 v22, vcc_lo, s1, v16, vcc_lo
	global_load_dwordx2 v[23:24], v[15:16], off
	v_add_co_u32 v15, vcc_lo, v21, s6
	v_add_co_ci_u32_e32 v16, vcc_lo, s1, v22, vcc_lo
	global_load_dwordx2 v[79:80], v[4:5], off offset:1912
	global_load_dwordx2 v[4:5], v[21:22], off
	global_load_dwordx2 v[81:82], v[95:96], off offset:304
	global_load_dwordx2 v[21:22], v[15:16], off
	v_add_nc_u32_e32 v16, 0x400, v99
	s_load_dwordx4 s[8:11], s[10:11], 0x0
	v_cmp_gt_u16_e32 vcc_lo, 11, v14
	s_waitcnt vmcnt(12)
	v_mul_f32_e32 v25, v1, v94
	s_waitcnt vmcnt(11)
	v_mul_f32_e32 v27, v3, v92
	v_mul_f32_e32 v28, v2, v92
	;; [unrolled: 1-line block ×3, first 2 shown]
	v_fmac_f32_e32 v25, v0, v93
	v_fmac_f32_e32 v27, v2, v91
	v_fma_f32 v28, v3, v91, -v28
	v_fma_f32 v26, v1, v93, -v15
	v_add_nc_u32_e32 v15, 0x800, v99
	s_waitcnt vmcnt(10)
	v_mul_f32_e32 v0, v7, v90
	s_waitcnt vmcnt(9)
	v_mul_f32_e32 v2, v9, v84
	v_mul_f32_e32 v3, v8, v84
	;; [unrolled: 1-line block ×3, first 2 shown]
	ds_write2_b64 v99, v[25:26], v[27:28] offset1:55
	v_fmac_f32_e32 v0, v6, v89
	s_waitcnt vmcnt(8)
	v_mul_f32_e32 v6, v11, v86
	v_fmac_f32_e32 v2, v8, v83
	v_fma_f32 v3, v9, v83, -v3
	v_fma_f32 v1, v7, v89, -v1
	v_mul_f32_e32 v7, v10, v86
	s_waitcnt vmcnt(7)
	v_mul_f32_e32 v8, v13, v88
	v_mul_f32_e32 v9, v12, v88
	v_fmac_f32_e32 v6, v10, v85
	v_fma_f32 v7, v11, v85, -v7
	s_waitcnt vmcnt(6)
	v_mul_f32_e32 v10, v20, v78
	v_fmac_f32_e32 v8, v12, v87
	v_fma_f32 v9, v13, v87, -v9
	v_mul_f32_e32 v11, v19, v78
	s_waitcnt vmcnt(5)
	v_mul_f32_e32 v12, v18, v76
	v_mul_f32_e32 v13, v17, v76
	v_fmac_f32_e32 v10, v19, v77
	v_fma_f32 v11, v20, v77, -v11
	s_waitcnt vmcnt(4)
	v_mul_f32_e32 v19, v24, v73
	v_fmac_f32_e32 v12, v17, v75
	v_fma_f32 v13, v18, v75, -v13
	v_mul_f32_e32 v18, v23, v73
	s_waitcnt vmcnt(2)
	v_mul_f32_e32 v17, v5, v80
	v_mul_f32_e32 v25, v4, v80
	v_fmac_f32_e32 v19, v23, v72
	s_waitcnt vmcnt(0)
	v_mul_f32_e32 v23, v22, v82
	v_mul_f32_e32 v26, v21, v82
	v_fma_f32 v20, v24, v72, -v18
	v_fmac_f32_e32 v17, v4, v79
	v_fma_f32 v18, v5, v79, -v25
	v_fmac_f32_e32 v23, v21, v81
	v_fma_f32 v24, v22, v81, -v26
	ds_write2_b64 v99, v[0:1], v[2:3] offset0:110 offset1:165
	ds_write2_b64 v16, v[6:7], v[8:9] offset0:92 offset1:147
	;; [unrolled: 1-line block ×4, first 2 shown]
	ds_write_b64 v99, v[23:24] offset:4400
	s_waitcnt lgkmcnt(0)
	s_barrier
	buffer_gl0_inv
	ds_read2_b64 v[0:3], v99 offset1:55
	ds_read_b64 v[12:13], v99 offset:4400
	ds_read2_b64 v[8:11], v16 offset0:92 offset1:147
	ds_read2_b64 v[4:7], v15 offset0:74 offset1:129
	;; [unrolled: 1-line block ×4, first 2 shown]
	v_mov_b32_e32 v21, 3
	v_mul_lo_u16 v22, v14, 11
	v_add_nc_u32_e32 v23, 0xc00, v99
	s_waitcnt lgkmcnt(0)
	s_barrier
	buffer_gl0_inv
	v_lshlrev_b32_sdwa v102, v21, v22 dst_sel:DWORD dst_unused:UNUSED_PAD src0_sel:DWORD src1_sel:WORD_0
	v_sub_f32_e32 v21, v3, v13
	v_sub_f32_e32 v22, v2, v12
	v_add_f32_e32 v28, v12, v2
	v_add_f32_e32 v29, v13, v3
	;; [unrolled: 1-line block ×4, first 2 shown]
	v_sub_f32_e32 v32, v8, v6
	v_sub_f32_e32 v33, v9, v7
	;; [unrolled: 1-line block ×3, first 2 shown]
	v_add_f32_e32 v2, v2, v17
	v_add_f32_e32 v3, v3, v18
	v_sub_f32_e32 v37, v11, v5
	v_sub_f32_e32 v40, v17, v26
	v_sub_f32_e32 v41, v18, v27
	v_sub_f32_e32 v44, v19, v24
	v_sub_f32_e32 v45, v20, v25
	v_mul_f32_e32 v46, 0xbf0a6770, v21
	v_mul_f32_e32 v47, 0xbf0a6770, v22
	;; [unrolled: 1-line block ×9, first 2 shown]
	v_add_f32_e32 v2, v2, v19
	v_add_f32_e32 v3, v3, v20
	v_mul_f32_e32 v22, 0xbe903f40, v22
	v_add_f32_e32 v30, v6, v8
	v_add_f32_e32 v31, v7, v9
	;; [unrolled: 1-line block ×8, first 2 shown]
	v_mul_f32_e32 v17, 0xbf4178ce, v41
	v_mul_f32_e32 v18, 0xbf4178ce, v40
	;; [unrolled: 1-line block ×40, first 2 shown]
	v_fma_f32 v114, 0x3f575c64, v28, -v46
	v_fmamk_f32 v115, v29, 0x3f575c64, v47
	v_fmac_f32_e32 v46, 0x3f575c64, v28
	v_fma_f32 v47, 0x3f575c64, v29, -v47
	v_fma_f32 v116, 0x3ed4b147, v28, -v48
	v_fmamk_f32 v117, v29, 0x3ed4b147, v49
	v_fma_f32 v118, 0xbe11bafb, v28, -v50
	v_fmamk_f32 v119, v29, 0xbe11bafb, v51
	v_fmac_f32_e32 v50, 0xbe11bafb, v28
	v_fma_f32 v51, 0xbe11bafb, v29, -v51
	v_fma_f32 v120, 0xbf27a4f4, v28, -v52
	v_fmamk_f32 v121, v29, 0xbf27a4f4, v53
	v_fmac_f32_e32 v52, 0xbf27a4f4, v28
	v_fma_f32 v122, 0xbf75a155, v28, -v21
	v_add_f32_e32 v2, v2, v8
	v_add_f32_e32 v3, v3, v9
	v_fmac_f32_e32 v48, 0x3ed4b147, v28
	v_fma_f32 v49, 0x3ed4b147, v29, -v49
	v_fma_f32 v53, 0xbf27a4f4, v29, -v53
	v_fmac_f32_e32 v21, 0xbf75a155, v28
	v_fmamk_f32 v28, v29, 0xbf75a155, v22
	v_fma_f32 v22, 0xbf75a155, v29, -v22
	v_fma_f32 v19, 0xbf27a4f4, v38, -v17
	v_fmamk_f32 v20, v39, 0xbf27a4f4, v18
	v_fma_f32 v29, 0xbf75a155, v42, -v54
	v_fmamk_f32 v123, v43, 0xbf75a155, v55
	;; [unrolled: 2-line block ×12, first 2 shown]
	v_fmac_f32_e32 v68, 0x3ed4b147, v38
	v_fma_f32 v69, 0x3ed4b147, v39, -v69
	v_fmac_f32_e32 v70, 0xbe11bafb, v42
	v_fma_f32 v71, 0xbe11bafb, v43, -v71
	;; [unrolled: 2-line block ×8, first 2 shown]
	v_fma_f32 v144, 0xbe11bafb, v38, -v106
	v_fmamk_f32 v145, v39, 0xbe11bafb, v107
	v_fma_f32 v146, 0x3f575c64, v42, -v108
	v_fmamk_f32 v147, v43, 0x3f575c64, v109
	;; [unrolled: 2-line block ×4, first 2 shown]
	v_fmac_f32_e32 v106, 0xbe11bafb, v38
	v_fma_f32 v107, 0xbe11bafb, v39, -v107
	v_fmac_f32_e32 v108, 0x3f575c64, v42
	v_fma_f32 v109, 0x3f575c64, v43, -v109
	;; [unrolled: 2-line block ×4, first 2 shown]
	v_fma_f32 v152, 0x3f575c64, v38, -v41
	v_fmamk_f32 v153, v39, 0x3f575c64, v40
	v_fma_f32 v154, 0xbf27a4f4, v42, -v45
	v_fmamk_f32 v155, v43, 0xbf27a4f4, v44
	;; [unrolled: 2-line block ×4, first 2 shown]
	v_fmac_f32_e32 v60, 0xbf75a155, v38
	v_fmac_f32_e32 v41, 0x3f575c64, v38
	v_fma_f32 v38, 0xbf75a155, v39, -v61
	v_fma_f32 v39, 0x3f575c64, v39, -v40
	v_fmac_f32_e32 v62, 0x3ed4b147, v42
	v_fmac_f32_e32 v45, 0xbf27a4f4, v42
	v_fma_f32 v40, 0x3ed4b147, v43, -v63
	v_fma_f32 v42, 0xbf27a4f4, v43, -v44
	;; [unrolled: 4-line block ×4, first 2 shown]
	v_add_f32_e32 v35, v0, v114
	v_add_f32_e32 v36, v1, v115
	;; [unrolled: 1-line block ×110, first 2 shown]
	ds_write2_b64 v102, v[0:1], v[2:3] offset0:2 offset1:3
	v_add_f32_e32 v0, v26, v12
	v_add_f32_e32 v1, v27, v13
	ds_write2_b64 v102, v[8:9], v[17:18] offset0:4 offset1:5
	ds_write2_b64 v102, v[19:20], v[10:11] offset0:6 offset1:7
	;; [unrolled: 1-line block ×3, first 2 shown]
	ds_write_b64 v102, v[24:25] offset:80
	ds_write2_b64 v102, v[0:1], v[4:5] offset1:1
	s_waitcnt lgkmcnt(0)
	s_barrier
	buffer_gl0_inv
	ds_read2_b64 v[28:31], v99 offset1:55
	ds_read2_b64 v[48:51], v99 offset0:121 offset1:176
	ds_read2_b64 v[44:47], v16 offset0:114 offset1:169
	;; [unrolled: 1-line block ×4, first 2 shown]
                                        ; implicit-def: $vgpr32
                                        ; implicit-def: $vgpr52
	s_and_saveexec_b32 s0, vcc_lo
	s_cbranch_execz .LBB0_3
; %bb.2:
	ds_read2_b64 v[24:27], v99 offset0:110 offset1:231
	ds_read2_b64 v[32:35], v15 offset0:96 offset1:217
	ds_read_b64 v[52:53], v99 offset:4752
.LBB0_3:
	s_or_b32 exec_lo, exec_lo, s0
	v_and_b32_e32 v0, 0xff, v100
	v_add_nc_u16 v1, v100, 55
	v_add_nc_u16 v4, v100, 0x6e
	v_mov_b32_e32 v58, 55
	v_mul_lo_u16 v0, 0x75, v0
	v_and_b32_e32 v3, 0xff, v1
	v_and_b32_e32 v5, 0xff, v4
	v_lshrrev_b16 v0, 8, v0
	v_mul_lo_u16 v3, 0x75, v3
	v_mul_lo_u16 v5, 0x75, v5
	v_sub_nc_u16 v2, v100, v0
	v_lshrrev_b16 v3, 8, v3
	v_lshrrev_b16 v2, 1, v2
	v_and_b32_e32 v2, 0x7f, v2
	v_add_nc_u16 v0, v2, v0
	v_sub_nc_u16 v2, v1, v3
	v_lshrrev_b16 v54, 3, v0
	v_lshrrev_b16 v0, 1, v2
	;; [unrolled: 1-line block ×3, first 2 shown]
	v_mul_lo_u16 v5, v54, 11
	v_and_b32_e32 v0, 0x7f, v0
	v_sub_nc_u16 v6, v4, v2
	v_mul_u32_u24_sdwa v54, v54, v58 dst_sel:DWORD dst_unused:UNUSED_PAD src0_sel:WORD_0 src1_sel:DWORD
	v_sub_nc_u16 v5, v100, v5
	v_add_nc_u16 v0, v0, v3
	v_lshrrev_b16 v3, 1, v6
	v_and_b32_e32 v55, 0xff, v5
	v_lshrrev_b16 v56, 3, v0
	v_and_b32_e32 v0, 0x7f, v3
	v_lshlrev_b32_e32 v3, 5, v55
	v_mul_lo_u16 v5, v56, 11
	v_add_nc_u16 v0, v0, v2
	v_mul_u32_u24_sdwa v56, v56, v58 dst_sel:DWORD dst_unused:UNUSED_PAD src0_sel:WORD_0 src1_sel:DWORD
	v_add_lshl_u32 v106, v54, v55, 3
	s_clause 0x1
	global_load_dwordx4 v[20:23], v3, s[2:3]
	global_load_dwordx4 v[12:15], v3, s[2:3] offset:16
	v_lshrrev_b16 v0, 3, v0
	v_sub_nc_u16 v1, v1, v5
	v_mul_lo_u16 v0, v0, 11
	v_and_b32_e32 v57, 0xff, v1
	v_sub_nc_u16 v101, v4, v0
	v_lshlrev_b32_e32 v1, 5, v57
	v_add_lshl_u32 v105, v56, v57, 3
	v_lshlrev_b16 v0, 2, v101
	s_clause 0x1
	global_load_dwordx4 v[16:19], v1, s[2:3]
	global_load_dwordx4 v[8:11], v1, s[2:3] offset:16
	v_and_b32_e32 v0, 0xfc, v0
	v_lshlrev_b32_e32 v0, 3, v0
	s_clause 0x1
	global_load_dwordx4 v[4:7], v0, s[2:3]
	global_load_dwordx4 v[0:3], v0, s[2:3] offset:16
	s_waitcnt vmcnt(0) lgkmcnt(0)
	s_barrier
	buffer_gl0_inv
	v_mul_f32_e32 v54, v49, v21
	v_mul_f32_e32 v55, v48, v21
	;; [unrolled: 1-line block ×8, first 2 shown]
	v_fma_f32 v48, v48, v20, -v54
	v_fmac_f32_e32 v55, v49, v20
	v_fma_f32 v44, v44, v22, -v56
	v_fmac_f32_e32 v57, v45, v22
	;; [unrolled: 2-line block ×4, first 2 shown]
	v_add_f32_e32 v63, v28, v48
	v_add_f32_e32 v64, v44, v45
	v_mul_f32_e32 v36, v51, v17
	v_mul_f32_e32 v54, v50, v17
	;; [unrolled: 1-line block ×8, first 2 shown]
	v_fma_f32 v50, v50, v16, -v36
	v_fmac_f32_e32 v54, v51, v16
	v_fma_f32 v51, v46, v18, -v37
	v_fmac_f32_e32 v56, v47, v18
	;; [unrolled: 2-line block ×4, first 2 shown]
	v_mul_f32_e32 v39, v27, v5
	v_mul_f32_e32 v41, v26, v5
	;; [unrolled: 1-line block ×8, first 2 shown]
	v_sub_f32_e32 v65, v55, v61
	v_sub_f32_e32 v67, v48, v44
	;; [unrolled: 1-line block ×3, first 2 shown]
	v_add_f32_e32 v69, v48, v49
	v_sub_f32_e32 v70, v44, v48
	v_sub_f32_e32 v71, v45, v49
	v_add_f32_e32 v97, v29, v55
	v_add_f32_e32 v98, v57, v59
	v_sub_f32_e32 v108, v55, v57
	v_sub_f32_e32 v109, v61, v59
	v_add_f32_e32 v110, v55, v61
	v_sub_f32_e32 v55, v57, v55
	v_sub_f32_e32 v111, v59, v61
	v_sub_f32_e32 v66, v57, v59
	v_sub_f32_e32 v107, v44, v45
	v_fma_f32 v42, v26, v4, -v39
	v_fmac_f32_e32 v41, v27, v4
	v_fma_f32 v32, v32, v6, -v43
	v_fmac_f32_e32 v40, v33, v6
	;; [unrolled: 2-line block ×4, first 2 shown]
	v_add_f32_e32 v35, v63, v44
	v_fma_f32 v33, -0.5, v64, v28
	v_add_f32_e32 v39, v67, v68
	v_fma_f32 v28, -0.5, v69, v28
	v_add_f32_e32 v60, v70, v71
	v_add_f32_e32 v44, v97, v57
	v_fma_f32 v34, -0.5, v98, v29
	v_add_f32_e32 v63, v108, v109
	v_fma_f32 v29, -0.5, v110, v29
	v_add_f32_e32 v64, v55, v111
	v_add_f32_e32 v52, v30, v50
	v_add_f32_e32 v53, v51, v47
	v_sub_f32_e32 v67, v54, v62
	v_sub_f32_e32 v55, v50, v51
	;; [unrolled: 1-line block ×3, first 2 shown]
	v_add_f32_e32 v69, v50, v38
	v_sub_f32_e32 v70, v51, v50
	v_sub_f32_e32 v71, v47, v38
	v_add_f32_e32 v97, v31, v54
	v_add_f32_e32 v98, v56, v58
	v_sub_f32_e32 v108, v50, v38
	v_sub_f32_e32 v50, v54, v56
	;; [unrolled: 1-line block ×3, first 2 shown]
	v_add_f32_e32 v111, v54, v62
	v_sub_f32_e32 v54, v56, v54
	v_sub_f32_e32 v112, v58, v62
	;; [unrolled: 1-line block ×3, first 2 shown]
	v_add_f32_e32 v35, v35, v45
	v_fmamk_f32 v43, v65, 0x3f737871, v33
	v_fmac_f32_e32 v33, 0xbf737871, v65
	v_fmamk_f32 v45, v66, 0xbf737871, v28
	v_fmac_f32_e32 v28, 0x3f737871, v66
	v_add_f32_e32 v51, v52, v51
	v_fma_f32 v52, -0.5, v53, v30
	v_add_f32_e32 v113, v55, v57
	v_fma_f32 v30, -0.5, v69, v30
	v_add_f32_e32 v69, v70, v71
	v_add_f32_e32 v57, v97, v56
	v_fma_f32 v53, -0.5, v98, v31
	v_add_f32_e32 v70, v50, v110
	v_add_f32_e32 v71, v54, v112
	;; [unrolled: 1-line block ×3, first 2 shown]
	v_sub_f32_e32 v97, v42, v32
	v_sub_f32_e32 v98, v26, v27
	v_add_f32_e32 v112, v42, v26
	v_add_f32_e32 v116, v40, v37
	;; [unrolled: 1-line block ×3, first 2 shown]
	v_sub_f32_e32 v48, v48, v49
	v_fmamk_f32 v46, v107, 0x3f737871, v29
	v_fmac_f32_e32 v29, 0xbf737871, v107
	v_fmac_f32_e32 v31, -0.5, v111
	v_sub_f32_e32 v110, v41, v36
	v_sub_f32_e32 v111, v40, v37
	;; [unrolled: 1-line block ×4, first 2 shown]
	v_add_f32_e32 v54, v35, v49
	v_fmac_f32_e32 v43, 0x3f167918, v66
	v_fmac_f32_e32 v33, 0xbf167918, v66
	;; [unrolled: 1-line block ×4, first 2 shown]
	v_add_f32_e32 v35, v51, v47
	v_add_f32_e32 v65, v97, v98
	v_fma_f32 v97, -0.5, v50, v24
	v_fma_f32 v98, -0.5, v116, v25
	;; [unrolled: 1-line block ×4, first 2 shown]
	v_sub_f32_e32 v68, v56, v58
	v_add_f32_e32 v59, v44, v59
	v_fmamk_f32 v44, v48, 0xbf737871, v34
	v_fmac_f32_e32 v34, 0x3f737871, v48
	v_sub_f32_e32 v114, v32, v42
	v_sub_f32_e32 v115, v27, v26
	;; [unrolled: 1-line block ×6, first 2 shown]
	v_fmac_f32_e32 v46, 0xbf167918, v48
	v_fmac_f32_e32 v29, 0x3f167918, v48
	;; [unrolled: 1-line block ×6, first 2 shown]
	v_add_f32_e32 v60, v35, v38
	v_fmamk_f32 v38, v110, 0x3f737871, v97
	v_fmac_f32_e32 v97, 0xbf737871, v110
	v_fmamk_f32 v48, v111, 0xbf737871, v50
	v_fmac_f32_e32 v50, 0x3f737871, v111
	;; [unrolled: 2-line block ×4, first 2 shown]
	v_fmamk_f32 v56, v67, 0x3f737871, v52
	v_add_f32_e32 v47, v57, v58
	v_fmamk_f32 v57, v108, 0xbf737871, v53
	v_add_f32_e32 v55, v59, v61
	v_fmamk_f32 v58, v68, 0xbf737871, v30
	v_fmac_f32_e32 v30, 0x3f737871, v68
	v_fmamk_f32 v59, v109, 0x3f737871, v31
	v_fmac_f32_e32 v31, 0xbf737871, v109
	v_fmac_f32_e32 v52, 0xbf737871, v67
	;; [unrolled: 1-line block ×5, first 2 shown]
	v_add_f32_e32 v66, v114, v115
	v_add_f32_e32 v107, v119, v120
	;; [unrolled: 1-line block ×3, first 2 shown]
	v_fmac_f32_e32 v38, 0x3f167918, v111
	v_fmac_f32_e32 v97, 0xbf167918, v111
	;; [unrolled: 1-line block ×28, first 2 shown]
	v_add_f32_e32 v61, v47, v62
	v_fmac_f32_e32 v56, 0x3e9e377a, v113
	v_fmac_f32_e32 v57, 0x3e9e377a, v70
	;; [unrolled: 1-line block ×8, first 2 shown]
	ds_write2_b64 v106, v[54:55], v[43:44] offset1:11
	ds_write2_b64 v106, v[45:46], v[28:29] offset0:22 offset1:33
	ds_write_b64 v106, v[33:34] offset:352
	ds_write2_b64 v105, v[60:61], v[56:57] offset1:11
	ds_write2_b64 v105, v[58:59], v[30:31] offset0:22 offset1:33
	ds_write_b64 v105, v[52:53] offset:352
	s_and_saveexec_b32 s0, vcc_lo
	s_cbranch_execz .LBB0_5
; %bb.4:
	v_add_f32_e32 v25, v25, v41
	v_add_f32_e32 v24, v24, v42
	v_mov_b32_e32 v28, 3
	v_add_f32_e32 v25, v25, v40
	v_add_f32_e32 v24, v24, v32
	v_lshlrev_b32_sdwa v28, v28, v101 dst_sel:DWORD dst_unused:UNUSED_PAD src0_sel:DWORD src1_sel:BYTE_0
	v_add_f32_e32 v25, v25, v37
	v_add_f32_e32 v24, v24, v27
	v_add_nc_u32_e32 v27, 0x1000, v28
	v_add_f32_e32 v25, v25, v36
	v_add_f32_e32 v24, v24, v26
	ds_write2_b64 v27, v[48:49], v[50:51] offset0:60 offset1:71
	ds_write2_b64 v27, v[24:25], v[38:39] offset0:38 offset1:49
	ds_write_b64 v28, v[97:98] offset:4752
.LBB0_5:
	s_or_b32 exec_lo, exec_lo, s0
	v_mad_u64_u32 v[32:33], null, 0x50, v100, s[2:3]
	s_waitcnt lgkmcnt(0)
	s_barrier
	buffer_gl0_inv
	v_add_nc_u32_e32 v108, 0x400, v99
	v_add_nc_u32_e32 v107, 0x800, v99
	v_add_co_u32 v109, s0, 0x12e8, v103
	s_clause 0x4
	global_load_dwordx4 v[44:47], v[32:33], off offset:352
	global_load_dwordx4 v[40:43], v[32:33], off offset:368
	global_load_dwordx4 v[28:31], v[32:33], off offset:384
	global_load_dwordx4 v[24:27], v[32:33], off offset:400
	global_load_dwordx4 v[32:35], v[32:33], off offset:416
	ds_read2_b64 v[52:55], v99 offset1:55
	ds_read2_b64 v[68:71], v99 offset0:110 offset1:165
	ds_read2_b64 v[64:67], v108 offset0:92 offset1:147
	;; [unrolled: 1-line block ×4, first 2 shown]
	ds_read_b64 v[36:37], v99 offset:4400
	v_add_co_ci_u32_e64 v110, s0, 0, v104, s0
	s_waitcnt vmcnt(4) lgkmcnt(5)
	v_mul_f32_e32 v111, v55, v45
	v_mul_f32_e32 v112, v54, v45
	s_waitcnt lgkmcnt(4)
	v_mul_f32_e32 v113, v69, v47
	v_mul_f32_e32 v114, v68, v47
	s_waitcnt vmcnt(2) lgkmcnt(3)
	v_mul_f32_e32 v120, v66, v29
	s_waitcnt vmcnt(0) lgkmcnt(0)
	v_mul_f32_e32 v129, v37, v35
	v_mul_f32_e32 v130, v36, v35
	v_fma_f32 v54, v54, v44, -v111
	v_fmac_f32_e32 v112, v55, v44
	v_mul_f32_e32 v115, v71, v41
	v_mul_f32_e32 v116, v70, v41
	;; [unrolled: 1-line block ×13, first 2 shown]
	v_fma_f32 v55, v68, v46, -v113
	v_fmac_f32_e32 v114, v69, v46
	v_fmac_f32_e32 v120, v67, v28
	v_fma_f32 v67, v36, v34, -v129
	v_fmac_f32_e32 v130, v37, v34
	v_add_f32_e32 v36, v52, v54
	v_add_f32_e32 v37, v53, v112
	v_fma_f32 v68, v70, v40, -v115
	v_fmac_f32_e32 v116, v71, v40
	v_fma_f32 v64, v64, v42, -v117
	v_fmac_f32_e32 v118, v65, v42
	v_fma_f32 v65, v66, v28, -v119
	v_fma_f32 v60, v60, v30, -v121
	v_fmac_f32_e32 v122, v61, v30
	v_fma_f32 v61, v62, v24, -v123
	v_fmac_f32_e32 v124, v63, v24
	;; [unrolled: 2-line block ×4, first 2 shown]
	v_add_f32_e32 v57, v54, v67
	v_sub_f32_e32 v54, v54, v67
	v_sub_f32_e32 v59, v112, v130
	v_add_f32_e32 v36, v36, v55
	v_add_f32_e32 v37, v37, v114
	;; [unrolled: 1-line block ×5, first 2 shown]
	v_sub_f32_e32 v69, v55, v66
	v_sub_f32_e32 v70, v114, v128
	;; [unrolled: 1-line block ×8, first 2 shown]
	v_mul_f32_e32 v55, 0xbf0a6770, v59
	v_mul_f32_e32 v114, 0xbf0a6770, v54
	;; [unrolled: 1-line block ×9, first 2 shown]
	v_add_f32_e32 v36, v36, v68
	v_add_f32_e32 v37, v37, v116
	v_add_f32_e32 v71, v68, v56
	v_add_f32_e32 v111, v116, v126
	v_add_f32_e32 v115, v64, v61
	v_add_f32_e32 v121, v118, v124
	v_add_f32_e32 v125, v65, v60
	v_add_f32_e32 v129, v120, v122
	v_mul_f32_e32 v59, 0xbe903f40, v59
	v_mul_f32_e32 v137, 0xbf68dda4, v70
	;; [unrolled: 1-line block ×41, first 2 shown]
	v_fma_f32 v68, 0x3f575c64, v57, -v55
	v_fmamk_f32 v116, v58, 0x3f575c64, v114
	v_fma_f32 v114, 0x3f575c64, v58, -v114
	v_fma_f32 v169, 0x3ed4b147, v57, -v131
	v_fmamk_f32 v170, v58, 0x3ed4b147, v132
	v_fmac_f32_e32 v131, 0x3ed4b147, v57
	v_fma_f32 v132, 0x3ed4b147, v58, -v132
	v_fma_f32 v171, 0xbe11bafb, v57, -v133
	v_fmamk_f32 v172, v58, 0xbe11bafb, v134
	v_fmac_f32_e32 v133, 0xbe11bafb, v57
	v_fma_f32 v134, 0xbe11bafb, v58, -v134
	v_fma_f32 v173, 0xbf27a4f4, v57, -v135
	v_fmamk_f32 v174, v58, 0xbf27a4f4, v136
	v_fma_f32 v136, 0xbf27a4f4, v58, -v136
	v_fmamk_f32 v176, v58, 0xbf75a155, v54
	v_fma_f32 v54, 0xbf75a155, v58, -v54
	v_add_f32_e32 v36, v36, v64
	v_add_f32_e32 v37, v37, v118
	v_fmac_f32_e32 v55, 0x3f575c64, v57
	v_fmac_f32_e32 v135, 0xbf27a4f4, v57
	v_fma_f32 v175, 0xbf75a155, v57, -v59
	v_fmac_f32_e32 v59, 0xbf75a155, v57
	v_fma_f32 v57, 0x3ed4b147, v62, -v137
	v_fmamk_f32 v58, v63, 0x3ed4b147, v138
	v_fmac_f32_e32 v137, 0x3ed4b147, v62
	v_fma_f32 v138, 0x3ed4b147, v63, -v138
	v_fma_f32 v177, 0xbf27a4f4, v62, -v139
	v_fmamk_f32 v178, v63, 0xbf27a4f4, v140
	v_fmac_f32_e32 v139, 0xbf27a4f4, v62
	v_fma_f32 v140, 0xbf27a4f4, v63, -v140
	;; [unrolled: 4-line block ×9, first 2 shown]
	v_fma_f32 v191, 0xbf27a4f4, v71, -v113
	v_fmac_f32_e32 v113, 0xbf27a4f4, v71
	v_fmamk_f32 v71, v111, 0xbf27a4f4, v112
	v_fma_f32 v111, 0xbf27a4f4, v111, -v112
	v_fma_f32 v112, 0xbf27a4f4, v115, -v153
	v_fmac_f32_e32 v153, 0xbf27a4f4, v115
	v_fma_f32 v192, 0xbe11bafb, v115, -v155
	v_fmac_f32_e32 v155, 0xbe11bafb, v115
	;; [unrolled: 2-line block ×5, first 2 shown]
	v_fmamk_f32 v115, v121, 0xbf27a4f4, v154
	v_fma_f32 v154, 0xbf27a4f4, v121, -v154
	v_fmamk_f32 v196, v121, 0xbe11bafb, v156
	v_fma_f32 v156, 0xbe11bafb, v121, -v156
	;; [unrolled: 2-line block ×5, first 2 shown]
	v_fma_f32 v121, 0xbf75a155, v125, -v161
	v_fmac_f32_e32 v161, 0xbf75a155, v125
	v_fma_f32 v200, 0x3f575c64, v125, -v162
	v_fmac_f32_e32 v162, 0x3f575c64, v125
	v_fma_f32 v201, 0xbf27a4f4, v125, -v163
	v_fmac_f32_e32 v163, 0xbf27a4f4, v125
	v_fma_f32 v202, 0x3ed4b147, v125, -v164
	v_fmac_f32_e32 v164, 0x3ed4b147, v125
	v_fma_f32 v203, 0xbe11bafb, v125, -v123
	v_fmac_f32_e32 v123, 0xbe11bafb, v125
	v_fmamk_f32 v125, v129, 0xbf75a155, v165
	v_fma_f32 v165, 0xbf75a155, v129, -v165
	v_fmamk_f32 v204, v129, 0x3f575c64, v166
	v_fma_f32 v166, 0x3f575c64, v129, -v166
	;; [unrolled: 2-line block ×5, first 2 shown]
	v_add_f32_e32 v68, v52, v68
	v_add_f32_e32 v116, v53, v116
	;; [unrolled: 1-line block ×112, first 2 shown]
	ds_write2_b64 v99, v[68:69], v[36:37] offset1:55
	ds_write2_b64 v99, v[54:55], v[58:59] offset0:110 offset1:165
	ds_write2_b64 v108, v[62:63], v[66:67] offset0:92 offset1:147
	;; [unrolled: 1-line block ×4, first 2 shown]
	ds_write_b64 v99, v[52:53] offset:4400
	s_waitcnt lgkmcnt(0)
	s_barrier
	buffer_gl0_inv
	s_clause 0x1
	global_load_dwordx2 v[36:37], v[95:96], off offset:744
	global_load_dwordx2 v[56:57], v[109:110], off offset:440
	v_add_co_u32 v52, s0, 0x1800, v103
	v_add_co_ci_u32_e64 v53, s0, 0, v104, s0
	v_add_co_u32 v54, s0, 0x2000, v103
	s_clause 0x3
	global_load_dwordx2 v[68:69], v[109:110], off offset:880
	global_load_dwordx2 v[70:71], v[109:110], off offset:1320
	;; [unrolled: 1-line block ×4, first 2 shown]
	v_add_co_ci_u32_e64 v55, s0, 0, v104, s0
	s_clause 0x4
	global_load_dwordx2 v[103:104], v[52:53], off offset:1336
	global_load_dwordx2 v[111:112], v[52:53], off offset:1776
	;; [unrolled: 1-line block ×5, first 2 shown]
	ds_read2_b64 v[52:55], v99 offset1:55
	s_waitcnt vmcnt(10) lgkmcnt(0)
	v_mul_f32_e32 v59, v53, v37
	v_mul_f32_e32 v58, v52, v37
	s_waitcnt vmcnt(9)
	v_mul_f32_e32 v60, v55, v57
	v_mul_f32_e32 v37, v54, v57
	v_fma_f32 v57, v52, v36, -v59
	v_fmac_f32_e32 v58, v53, v36
	v_fma_f32 v36, v54, v56, -v60
	v_fmac_f32_e32 v37, v55, v56
	ds_write2_b64 v99, v[57:58], v[36:37] offset1:55
	ds_read2_b64 v[52:55], v99 offset0:110 offset1:165
	ds_read2_b64 v[56:59], v108 offset0:92 offset1:147
	;; [unrolled: 1-line block ×4, first 2 shown]
	ds_read_b64 v[36:37], v99 offset:4400
	s_waitcnt vmcnt(8) lgkmcnt(4)
	v_mul_f32_e32 v120, v53, v69
	v_mul_f32_e32 v119, v52, v69
	s_waitcnt vmcnt(7)
	v_mul_f32_e32 v121, v55, v71
	v_mul_f32_e32 v69, v54, v71
	s_waitcnt vmcnt(6) lgkmcnt(3)
	v_mul_f32_e32 v122, v57, v96
	v_mul_f32_e32 v71, v56, v96
	s_waitcnt vmcnt(5)
	v_mul_f32_e32 v123, v59, v110
	v_mul_f32_e32 v96, v58, v110
	;; [unrolled: 6-line block ×4, first 2 shown]
	s_waitcnt vmcnt(0) lgkmcnt(0)
	v_mul_f32_e32 v128, v37, v118
	v_mul_f32_e32 v116, v36, v118
	v_fma_f32 v118, v52, v68, -v120
	v_fmac_f32_e32 v119, v53, v68
	v_fma_f32 v68, v54, v70, -v121
	v_fmac_f32_e32 v69, v55, v70
	;; [unrolled: 2-line block ×9, first 2 shown]
	ds_write2_b64 v99, v[118:119], v[68:69] offset0:110 offset1:165
	ds_write2_b64 v108, v[70:71], v[95:96] offset0:92 offset1:147
	;; [unrolled: 1-line block ×4, first 2 shown]
	ds_write_b64 v99, v[115:116] offset:4400
	s_waitcnt lgkmcnt(0)
	s_barrier
	buffer_gl0_inv
	ds_read2_b64 v[60:63], v99 offset1:55
	ds_read_b64 v[95:96], v99 offset:4400
	ds_read2_b64 v[68:71], v99 offset0:110 offset1:165
	ds_read2_b64 v[52:55], v107 offset0:184 offset1:239
	;; [unrolled: 1-line block ×4, first 2 shown]
	v_add_nc_u32_e32 v103, 0xc00, v99
	s_waitcnt lgkmcnt(0)
	s_barrier
	buffer_gl0_inv
	v_add_f32_e32 v36, v60, v62
	v_add_f32_e32 v37, v61, v63
	;; [unrolled: 1-line block ×3, first 2 shown]
	v_sub_f32_e32 v63, v63, v96
	v_add_f32_e32 v104, v95, v62
	v_add_f32_e32 v36, v36, v68
	;; [unrolled: 1-line block ×3, first 2 shown]
	v_sub_f32_e32 v62, v62, v95
	v_add_f32_e32 v110, v54, v68
	v_add_f32_e32 v111, v55, v69
	v_sub_f32_e32 v112, v68, v54
	v_sub_f32_e32 v113, v69, v55
	v_add_f32_e32 v115, v53, v71
	v_sub_f32_e32 v117, v71, v53
	v_add_f32_e32 v119, v59, v65
	;; [unrolled: 2-line block ×3, first 2 shown]
	v_sub_f32_e32 v125, v67, v57
	v_mul_f32_e32 v68, 0xbf0a6770, v63
	v_mul_f32_e32 v69, 0x3f575c64, v109
	v_mul_f32_e32 v126, 0xbf68dda4, v63
	v_mul_f32_e32 v127, 0x3ed4b147, v109
	v_mul_f32_e32 v128, 0xbf7d64f0, v63
	v_mul_f32_e32 v129, 0xbe11bafb, v109
	v_mul_f32_e32 v130, 0xbf4178ce, v63
	v_add_f32_e32 v36, v36, v70
	v_add_f32_e32 v37, v37, v71
	v_mul_f32_e32 v131, 0xbf27a4f4, v109
	v_mul_f32_e32 v63, 0xbe903f40, v63
	;; [unrolled: 1-line block ×3, first 2 shown]
	v_add_f32_e32 v114, v52, v70
	v_sub_f32_e32 v116, v70, v52
	v_add_f32_e32 v118, v58, v64
	v_sub_f32_e32 v120, v64, v58
	v_add_f32_e32 v122, v56, v66
	v_sub_f32_e32 v124, v66, v56
	v_mul_f32_e32 v132, 0xbf68dda4, v113
	v_mul_f32_e32 v133, 0x3ed4b147, v111
	;; [unrolled: 1-line block ×40, first 2 shown]
	v_fmamk_f32 v70, v104, 0x3f575c64, v68
	v_fmamk_f32 v71, v62, 0x3f0a6770, v69
	v_fma_f32 v68, 0x3f575c64, v104, -v68
	v_fmac_f32_e32 v69, 0xbf0a6770, v62
	v_fmamk_f32 v164, v104, 0x3ed4b147, v126
	v_fmamk_f32 v165, v62, 0x3f68dda4, v127
	v_fma_f32 v126, 0x3ed4b147, v104, -v126
	v_fmac_f32_e32 v127, 0xbf68dda4, v62
	;; [unrolled: 4-line block ×3, first 2 shown]
	v_fmamk_f32 v168, v104, 0xbf27a4f4, v130
	v_add_f32_e32 v36, v36, v64
	v_add_f32_e32 v37, v37, v65
	v_fmamk_f32 v169, v62, 0x3f4178ce, v131
	v_fma_f32 v130, 0xbf27a4f4, v104, -v130
	v_fmac_f32_e32 v131, 0xbf4178ce, v62
	v_fmamk_f32 v170, v104, 0xbf75a155, v63
	v_fmamk_f32 v171, v62, 0x3e903f40, v109
	v_fma_f32 v63, 0xbf75a155, v104, -v63
	v_fmac_f32_e32 v109, 0xbe903f40, v62
	v_fmamk_f32 v62, v110, 0x3ed4b147, v132
	;; [unrolled: 4-line block ×14, first 2 shown]
	v_fma_f32 v152, 0x3f575c64, v118, -v152
	v_fmamk_f32 v191, v118, 0xbf75a155, v154
	v_fma_f32 v154, 0xbf75a155, v118, -v154
	v_fmamk_f32 v192, v118, 0x3ed4b147, v121
	;; [unrolled: 2-line block ×3, first 2 shown]
	v_fmac_f32_e32 v153, 0xbf0a6770, v120
	v_fmamk_f32 v193, v120, 0x3e903f40, v155
	v_fmac_f32_e32 v155, 0xbe903f40, v120
	v_fmamk_f32 v194, v120, 0xbf68dda4, v119
	v_fmac_f32_e32 v119, 0x3f68dda4, v120
	v_fmamk_f32 v120, v122, 0xbf75a155, v156
	v_fma_f32 v156, 0xbf75a155, v122, -v156
	v_fmamk_f32 v195, v122, 0x3f575c64, v157
	v_fma_f32 v157, 0x3f575c64, v122, -v157
	v_fmamk_f32 v196, v122, 0xbf27a4f4, v158
	;; [unrolled: 2-line block ×5, first 2 shown]
	v_fmac_f32_e32 v160, 0xbe903f40, v124
	v_fmamk_f32 v199, v124, 0xbf0a6770, v161
	v_fmac_f32_e32 v161, 0x3f0a6770, v124
	v_fmamk_f32 v200, v124, 0x3f4178ce, v162
	;; [unrolled: 2-line block ×4, first 2 shown]
	v_fmac_f32_e32 v123, 0xbf7d64f0, v124
	v_add_f32_e32 v70, v60, v70
	v_add_f32_e32 v71, v61, v71
	;; [unrolled: 1-line block ×110, first 2 shown]
	ds_write2_b64 v102, v[56:57], v[60:61] offset0:2 offset1:3
	v_add_f32_e32 v56, v70, v95
	v_add_f32_e32 v57, v71, v96
	ds_write2_b64 v102, v[64:65], v[68:69] offset0:4 offset1:5
	ds_write2_b64 v102, v[54:55], v[66:67] offset0:6 offset1:7
	;; [unrolled: 1-line block ×3, first 2 shown]
	ds_write_b64 v102, v[36:37] offset:80
	ds_write2_b64 v102, v[56:57], v[52:53] offset1:1
	s_waitcnt lgkmcnt(0)
	s_barrier
	buffer_gl0_inv
	ds_read2_b64 v[52:55], v99 offset1:55
	ds_read2_b64 v[68:71], v99 offset0:121 offset1:176
	ds_read2_b64 v[64:67], v108 offset0:114 offset1:169
	;; [unrolled: 1-line block ×4, first 2 shown]
	s_and_saveexec_b32 s0, vcc_lo
	s_cbranch_execz .LBB0_7
; %bb.6:
	ds_read2_b64 v[36:39], v99 offset0:110 offset1:231
	ds_read2_b64 v[48:51], v107 offset0:96 offset1:217
	ds_read_b64 v[97:98], v99 offset:4752
.LBB0_7:
	s_or_b32 exec_lo, exec_lo, s0
	s_waitcnt lgkmcnt(3)
	v_mul_f32_e32 v95, v21, v69
	v_mul_f32_e32 v21, v21, v68
	s_waitcnt lgkmcnt(2)
	v_mul_f32_e32 v96, v23, v65
	v_mul_f32_e32 v23, v23, v64
	s_waitcnt lgkmcnt(0)
	v_fmac_f32_e32 v95, v20, v68
	v_fma_f32 v20, v20, v69, -v21
	v_mul_f32_e32 v21, v13, v61
	v_mul_f32_e32 v13, v13, v60
	;; [unrolled: 1-line block ×3, first 2 shown]
	v_fmac_f32_e32 v96, v22, v64
	v_fma_f32 v22, v22, v65, -v23
	v_fmac_f32_e32 v21, v12, v60
	v_fma_f32 v23, v12, v61, -v13
	v_mul_f32_e32 v12, v15, v56
	v_mul_f32_e32 v13, v17, v70
	v_fmac_f32_e32 v68, v14, v56
	v_mul_f32_e32 v60, v17, v71
	v_mul_f32_e32 v61, v19, v67
	v_mul_f32_e32 v15, v19, v66
	v_fma_f32 v56, v14, v57, -v12
	v_fma_f32 v64, v16, v71, -v13
	v_mul_f32_e32 v57, v9, v63
	v_mul_f32_e32 v13, v9, v62
	v_add_f32_e32 v14, v52, v95
	v_fmac_f32_e32 v60, v16, v70
	v_fmac_f32_e32 v61, v18, v66
	v_fma_f32 v65, v18, v67, -v15
	v_add_f32_e32 v12, v96, v21
	v_fmac_f32_e32 v57, v8, v62
	v_fma_f32 v8, v8, v63, -v13
	v_add_f32_e32 v13, v14, v96
	v_sub_f32_e32 v14, v95, v96
	v_sub_f32_e32 v16, v68, v21
	v_add_f32_e32 v18, v95, v68
	v_mul_f32_e32 v66, v11, v59
	v_fma_f32 v9, -0.5, v12, v52
	v_sub_f32_e32 v15, v20, v56
	v_sub_f32_e32 v17, v22, v23
	v_mul_f32_e32 v11, v11, v58
	v_add_f32_e32 v13, v13, v21
	v_add_f32_e32 v19, v14, v16
	v_fma_f32 v14, -0.5, v18, v52
	v_fmac_f32_e32 v66, v10, v58
	v_fmamk_f32 v12, v15, 0xbf737871, v9
	v_fma_f32 v11, v10, v59, -v11
	v_add_f32_e32 v16, v13, v68
	v_fmac_f32_e32 v9, 0x3f737871, v15
	v_fmamk_f32 v18, v17, 0x3f737871, v14
	v_sub_f32_e32 v10, v96, v95
	v_sub_f32_e32 v13, v21, v68
	v_add_f32_e32 v52, v53, v20
	v_add_f32_e32 v58, v22, v23
	v_fmac_f32_e32 v14, 0xbf737871, v17
	v_fmac_f32_e32 v12, 0xbf167918, v17
	v_fmac_f32_e32 v9, 0x3f167918, v17
	v_fmac_f32_e32 v18, 0xbf167918, v15
	v_add_f32_e32 v59, v10, v13
	v_add_f32_e32 v13, v52, v22
	v_fma_f32 v10, -0.5, v58, v53
	v_sub_f32_e32 v52, v95, v68
	v_fmac_f32_e32 v14, 0x3f167918, v15
	v_add_f32_e32 v15, v20, v56
	v_fmac_f32_e32 v12, 0x3e9e377a, v19
	v_fmac_f32_e32 v9, 0x3e9e377a, v19
	v_add_f32_e32 v17, v13, v23
	v_fmamk_f32 v13, v52, 0x3f737871, v10
	v_sub_f32_e32 v21, v96, v21
	v_sub_f32_e32 v19, v20, v22
	;; [unrolled: 1-line block ×3, first 2 shown]
	v_fma_f32 v15, -0.5, v15, v53
	v_fmac_f32_e32 v10, 0xbf737871, v52
	v_sub_f32_e32 v20, v22, v20
	v_sub_f32_e32 v22, v23, v56
	v_add_f32_e32 v23, v61, v57
	v_add_f32_e32 v17, v17, v56
	v_fmac_f32_e32 v13, 0x3f167918, v21
	v_add_f32_e32 v53, v19, v58
	v_fmamk_f32 v19, v21, 0xbf737871, v15
	v_fmac_f32_e32 v10, 0xbf167918, v21
	v_add_f32_e32 v56, v20, v22
	v_fmac_f32_e32 v15, 0x3f737871, v21
	v_fma_f32 v20, -0.5, v23, v54
	v_sub_f32_e32 v23, v64, v11
	v_add_f32_e32 v21, v54, v60
	v_fmac_f32_e32 v13, 0x3e9e377a, v53
	v_fmac_f32_e32 v19, 0x3f167918, v52
	;; [unrolled: 1-line block ×4, first 2 shown]
	v_fmamk_f32 v22, v23, 0xbf737871, v20
	v_sub_f32_e32 v53, v65, v8
	v_sub_f32_e32 v52, v60, v61
	;; [unrolled: 1-line block ×3, first 2 shown]
	v_fmac_f32_e32 v20, 0x3f737871, v23
	v_fmac_f32_e32 v18, 0x3e9e377a, v59
	v_fmac_f32_e32 v14, 0x3e9e377a, v59
	v_add_f32_e32 v21, v21, v61
	v_add_f32_e32 v59, v60, v66
	v_fmac_f32_e32 v22, 0xbf167918, v53
	v_add_f32_e32 v58, v52, v58
	v_fmac_f32_e32 v20, 0x3f167918, v53
	v_add_f32_e32 v21, v21, v57
	v_fma_f32 v54, -0.5, v59, v54
	v_sub_f32_e32 v59, v57, v66
	v_fmac_f32_e32 v22, 0x3e9e377a, v58
	v_fmac_f32_e32 v20, 0x3e9e377a, v58
	v_sub_f32_e32 v58, v61, v60
	v_fmac_f32_e32 v19, 0x3e9e377a, v56
	v_fmac_f32_e32 v15, 0x3e9e377a, v56
	v_add_f32_e32 v52, v21, v66
	v_fmamk_f32 v56, v53, 0x3f737871, v54
	v_add_f32_e32 v21, v65, v8
	v_fmac_f32_e32 v54, 0xbf737871, v53
	v_add_f32_e32 v53, v55, v64
	v_add_f32_e32 v58, v58, v59
	;; [unrolled: 1-line block ×3, first 2 shown]
	v_fma_f32 v21, -0.5, v21, v55
	v_sub_f32_e32 v60, v60, v66
	v_fmac_f32_e32 v56, 0xbf167918, v23
	v_fmac_f32_e32 v54, 0x3f167918, v23
	v_add_f32_e32 v53, v53, v65
	v_sub_f32_e32 v61, v61, v57
	v_fmac_f32_e32 v55, -0.5, v59
	v_fmamk_f32 v23, v60, 0x3f737871, v21
	v_fmac_f32_e32 v56, 0x3e9e377a, v58
	v_fmac_f32_e32 v54, 0x3e9e377a, v58
	v_sub_f32_e32 v58, v64, v65
	v_sub_f32_e32 v59, v11, v8
	v_add_f32_e32 v53, v53, v8
	v_fmamk_f32 v57, v61, 0xbf737871, v55
	v_sub_f32_e32 v62, v65, v64
	v_sub_f32_e32 v8, v8, v11
	v_fmac_f32_e32 v55, 0x3f737871, v61
	v_fmac_f32_e32 v21, 0xbf737871, v60
	;; [unrolled: 1-line block ×3, first 2 shown]
	v_add_f32_e32 v58, v58, v59
	v_fmac_f32_e32 v57, 0x3f167918, v60
	v_add_f32_e32 v8, v62, v8
	v_fmac_f32_e32 v55, 0xbf167918, v60
	v_fmac_f32_e32 v21, 0xbf167918, v61
	v_add_f32_e32 v53, v53, v11
	v_fmac_f32_e32 v23, 0x3e9e377a, v58
	v_fmac_f32_e32 v57, 0x3e9e377a, v8
	;; [unrolled: 1-line block ×4, first 2 shown]
	s_barrier
	buffer_gl0_inv
	ds_write2_b64 v106, v[16:17], v[12:13] offset1:11
	ds_write2_b64 v106, v[18:19], v[14:15] offset0:22 offset1:33
	ds_write_b64 v106, v[9:10] offset:352
	ds_write2_b64 v105, v[52:53], v[22:23] offset1:11
	ds_write2_b64 v105, v[56:57], v[54:55] offset0:22 offset1:33
	ds_write_b64 v105, v[20:21] offset:352
	s_and_saveexec_b32 s0, vcc_lo
	s_cbranch_execz .LBB0_9
; %bb.8:
	v_mul_f32_e32 v8, v5, v38
	v_mul_f32_e32 v9, v3, v97
	;; [unrolled: 1-line block ×6, first 2 shown]
	v_fma_f32 v8, v4, v39, -v8
	v_fma_f32 v9, v2, v98, -v9
	;; [unrolled: 1-line block ×3, first 2 shown]
	v_mul_f32_e32 v14, v3, v98
	v_fma_f32 v15, v0, v51, -v1
	v_fmac_f32_e32 v11, v6, v48
	v_fmac_f32_e32 v12, v0, v50
	v_add_f32_e32 v6, v8, v9
	v_mul_f32_e32 v13, v5, v39
	v_fmac_f32_e32 v14, v2, v97
	v_sub_f32_e32 v0, v10, v8
	v_sub_f32_e32 v2, v15, v9
	;; [unrolled: 1-line block ×3, first 2 shown]
	v_fma_f32 v1, -0.5, v6, v37
	v_fmac_f32_e32 v13, v4, v38
	v_add_f32_e32 v5, v10, v15
	v_add_f32_e32 v0, v0, v2
	v_sub_f32_e32 v2, v8, v10
	v_sub_f32_e32 v6, v9, v15
	v_fmamk_f32 v3, v16, 0x3f737871, v1
	v_sub_f32_e32 v4, v13, v14
	v_fmac_f32_e32 v1, 0xbf737871, v16
	v_fma_f32 v5, -0.5, v5, v37
	v_add_f32_e32 v6, v2, v6
	v_add_f32_e32 v2, v37, v8
	v_fmac_f32_e32 v3, 0xbf167918, v4
	v_fmac_f32_e32 v1, 0x3f167918, v4
	v_fmamk_f32 v7, v4, 0xbf737871, v5
	v_fmac_f32_e32 v5, 0x3f737871, v4
	v_add_f32_e32 v4, v2, v10
	v_sub_f32_e32 v17, v10, v15
	v_fmac_f32_e32 v3, 0x3e9e377a, v0
	v_fmac_f32_e32 v1, 0x3e9e377a, v0
	v_add_f32_e32 v0, v13, v14
	v_add_f32_e32 v4, v4, v15
	;; [unrolled: 1-line block ×3, first 2 shown]
	v_fmac_f32_e32 v7, 0xbf167918, v16
	v_sub_f32_e32 v8, v8, v9
	v_fmac_f32_e32 v5, 0x3f167918, v16
	v_add_f32_e32 v9, v4, v9
	v_fma_f32 v4, -0.5, v15, v36
	v_add_f32_e32 v15, v36, v13
	v_fma_f32 v0, -0.5, v0, v36
	v_sub_f32_e32 v10, v11, v13
	v_fmac_f32_e32 v7, 0x3e9e377a, v6
	v_fmac_f32_e32 v5, 0x3e9e377a, v6
	v_sub_f32_e32 v13, v13, v11
	v_sub_f32_e32 v16, v14, v12
	v_fmamk_f32 v6, v8, 0x3f737871, v4
	v_fmac_f32_e32 v4, 0xbf737871, v8
	v_add_f32_e32 v11, v15, v11
	v_mov_b32_e32 v15, 3
	v_sub_f32_e32 v18, v12, v14
	v_fmamk_f32 v2, v17, 0xbf737871, v0
	v_fmac_f32_e32 v0, 0x3f737871, v17
	v_add_f32_e32 v13, v13, v16
	v_fmac_f32_e32 v4, 0xbf167918, v17
	v_add_f32_e32 v11, v11, v12
	v_lshlrev_b32_sdwa v12, v15, v101 dst_sel:DWORD dst_unused:UNUSED_PAD src0_sel:DWORD src1_sel:BYTE_0
	v_add_f32_e32 v10, v10, v18
	v_fmac_f32_e32 v2, 0x3f167918, v8
	v_fmac_f32_e32 v0, 0xbf167918, v8
	;; [unrolled: 1-line block ×4, first 2 shown]
	v_add_f32_e32 v8, v11, v14
	v_add_nc_u32_e32 v11, 0x1000, v12
	v_fmac_f32_e32 v2, 0x3e9e377a, v10
	v_fmac_f32_e32 v0, 0x3e9e377a, v10
	v_fmac_f32_e32 v6, 0x3e9e377a, v13
	ds_write2_b64 v11, v[8:9], v[4:5] offset0:38 offset1:49
	ds_write2_b64 v11, v[0:1], v[2:3] offset0:60 offset1:71
	ds_write_b64 v12, v[6:7] offset:4752
.LBB0_9:
	s_or_b32 exec_lo, exec_lo, s0
	s_waitcnt lgkmcnt(0)
	s_barrier
	buffer_gl0_inv
	ds_read2_b64 v[2:5], v99 offset1:55
	ds_read2_b64 v[6:9], v99 offset0:110 offset1:165
	v_add_nc_u32_e32 v1, 0x400, v99
	v_add_nc_u32_e32 v0, 0x800, v99
	ds_read2_b64 v[10:13], v1 offset0:92 offset1:147
	ds_read2_b64 v[14:17], v0 offset0:74 offset1:129
	ds_read_b64 v[22:23], v99 offset:4400
	ds_read2_b64 v[18:21], v0 offset0:184 offset1:239
	s_mov_b32 s0, 0xdfd760e6
	s_mov_b32 s1, 0x3f5b14bb
	s_mul_i32 s2, s9, 0x1b8
	s_mul_hi_u32 s3, s8, 0x1b8
	s_add_i32 s2, s3, s2
	s_mul_i32 s3, s8, 0x1b8
	s_waitcnt lgkmcnt(5)
	v_mul_f32_e32 v36, v45, v5
	v_mul_f32_e32 v37, v45, v4
	s_waitcnt lgkmcnt(4)
	v_mul_f32_e32 v45, v41, v9
	v_mul_f32_e32 v38, v47, v7
	;; [unrolled: 1-line block ×4, first 2 shown]
	v_fmac_f32_e32 v36, v44, v4
	v_fma_f32 v4, v44, v5, -v37
	v_fmac_f32_e32 v45, v40, v8
	s_waitcnt lgkmcnt(3)
	v_mul_f32_e32 v8, v43, v11
	v_mul_f32_e32 v5, v43, v10
	v_fmac_f32_e32 v38, v46, v6
	v_fma_f32 v6, v46, v7, -v39
	v_fma_f32 v7, v40, v9, -v41
	v_mul_f32_e32 v9, v29, v13
	v_mul_f32_e32 v29, v29, v12
	v_fmac_f32_e32 v8, v42, v10
	v_fma_f32 v10, v42, v11, -v5
	v_add_f32_e32 v5, v2, v36
	v_add_f32_e32 v11, v3, v4
	v_fmac_f32_e32 v9, v28, v12
	v_fma_f32 v12, v28, v13, -v29
	s_waitcnt lgkmcnt(2)
	v_mul_f32_e32 v13, v31, v14
	v_add_f32_e32 v5, v5, v38
	v_add_f32_e32 v11, v11, v6
	v_mul_f32_e32 v37, v31, v15
	v_fma_f32 v13, v30, v15, -v13
	v_mul_f32_e32 v15, v25, v16
	v_add_f32_e32 v5, v5, v45
	v_add_f32_e32 v11, v11, v7
	v_fmac_f32_e32 v37, v30, v14
	v_mul_f32_e32 v14, v25, v17
	v_fma_f32 v15, v24, v17, -v15
	v_add_f32_e32 v5, v5, v8
	v_add_f32_e32 v11, v11, v10
	s_waitcnt lgkmcnt(0)
	v_mul_f32_e32 v17, v27, v18
	v_fmac_f32_e32 v14, v24, v16
	v_mul_f32_e32 v16, v27, v19
	v_add_f32_e32 v5, v5, v9
	v_add_f32_e32 v11, v11, v12
	v_fma_f32 v17, v26, v19, -v17
	v_mul_f32_e32 v19, v35, v22
	v_fmac_f32_e32 v16, v26, v18
	v_mul_f32_e32 v18, v33, v21
	v_add_f32_e32 v5, v5, v37
	v_add_f32_e32 v11, v11, v13
	v_mul_f32_e32 v24, v35, v23
	v_fma_f32 v19, v34, v23, -v19
	v_fmac_f32_e32 v18, v32, v20
	v_mul_f32_e32 v20, v33, v20
	v_add_f32_e32 v5, v5, v14
	v_add_f32_e32 v11, v11, v15
	v_fmac_f32_e32 v24, v34, v22
	v_sub_f32_e32 v22, v4, v19
	v_fma_f32 v20, v32, v21, -v20
	v_add_f32_e32 v5, v5, v16
	v_add_f32_e32 v11, v11, v17
	;; [unrolled: 1-line block ×3, first 2 shown]
	v_mul_f32_e32 v23, 0xbf0a6770, v22
	v_add_f32_e32 v25, v4, v19
	v_add_f32_e32 v4, v5, v18
	;; [unrolled: 1-line block ×3, first 2 shown]
	v_sub_f32_e32 v11, v36, v24
	v_fmamk_f32 v26, v21, 0x3f575c64, v23
	v_mul_f32_e32 v27, 0x3f575c64, v25
	v_mul_f32_e32 v28, 0x3ed4b147, v25
	v_add_f32_e32 v5, v5, v19
	v_mul_f32_e32 v31, 0xbf7d64f0, v22
	v_add_f32_e32 v19, v2, v26
	v_mul_f32_e32 v26, 0xbf68dda4, v22
	v_mul_f32_e32 v33, 0xbe11bafb, v25
	;; [unrolled: 1-line block ×6, first 2 shown]
	v_sub_f32_e32 v43, v6, v20
	v_add_f32_e32 v6, v6, v20
	v_add_f32_e32 v4, v4, v24
	v_fmamk_f32 v24, v11, 0x3f0a6770, v27
	v_fma_f32 v23, 0x3f575c64, v21, -v23
	v_fmac_f32_e32 v27, 0xbf0a6770, v11
	v_fmamk_f32 v29, v21, 0x3ed4b147, v26
	v_fmamk_f32 v30, v11, 0x3f68dda4, v28
	v_fma_f32 v26, 0x3ed4b147, v21, -v26
	v_fmac_f32_e32 v28, 0xbf68dda4, v11
	v_fmamk_f32 v32, v21, 0xbe11bafb, v31
	;; [unrolled: 4-line block ×4, first 2 shown]
	v_fmamk_f32 v42, v11, 0x3e903f40, v25
	v_add_f32_e32 v44, v38, v18
	v_mul_f32_e32 v20, 0xbf68dda4, v43
	v_fma_f32 v21, 0xbf75a155, v21, -v22
	v_fmac_f32_e32 v25, 0xbe903f40, v11
	v_sub_f32_e32 v11, v38, v18
	v_mul_f32_e32 v18, 0x3ed4b147, v6
	v_add_f32_e32 v24, v3, v24
	v_add_f32_e32 v23, v2, v23
	;; [unrolled: 1-line block ×17, first 2 shown]
	v_fmamk_f32 v22, v44, 0x3ed4b147, v20
	v_add_f32_e32 v2, v2, v21
	v_add_f32_e32 v3, v3, v25
	v_mul_f32_e32 v21, 0xbf4178ce, v43
	v_fmamk_f32 v25, v11, 0x3f68dda4, v18
	v_add_f32_e32 v19, v22, v19
	v_fma_f32 v20, 0x3ed4b147, v44, -v20
	v_fmac_f32_e32 v18, 0xbf68dda4, v11
	v_fmamk_f32 v22, v44, 0xbf27a4f4, v21
	v_add_f32_e32 v24, v25, v24
	v_mul_f32_e32 v25, 0xbf27a4f4, v6
	v_add_f32_e32 v20, v20, v23
	v_add_f32_e32 v18, v18, v27
	;; [unrolled: 1-line block ×3, first 2 shown]
	v_mul_f32_e32 v23, 0x3e903f40, v43
	v_fmamk_f32 v27, v11, 0x3f4178ce, v25
	v_fma_f32 v21, 0xbf27a4f4, v44, -v21
	v_mul_f32_e32 v29, 0xbf75a155, v6
	v_fmac_f32_e32 v25, 0xbf4178ce, v11
	v_fmamk_f32 v38, v44, 0xbf75a155, v23
	v_add_f32_e32 v27, v27, v30
	v_add_f32_e32 v21, v21, v26
	v_fmamk_f32 v26, v11, 0xbe903f40, v29
	v_mul_f32_e32 v30, 0x3f7d64f0, v43
	v_fma_f32 v23, 0xbf75a155, v44, -v23
	v_add_f32_e32 v25, v25, v28
	v_add_f32_e32 v28, v38, v32
	;; [unrolled: 1-line block ×3, first 2 shown]
	v_fmamk_f32 v35, v44, 0xbe11bafb, v30
	v_add_f32_e32 v23, v23, v31
	v_mul_f32_e32 v31, 0x3f0a6770, v43
	v_fmac_f32_e32 v29, 0x3e903f40, v11
	v_mul_f32_e32 v32, 0xbe11bafb, v6
	v_add_f32_e32 v35, v35, v36
	v_fma_f32 v30, 0xbe11bafb, v44, -v30
	v_fmamk_f32 v36, v44, 0x3f575c64, v31
	v_add_f32_e32 v29, v29, v33
	v_fmamk_f32 v33, v11, 0xbf7d64f0, v32
	v_fmac_f32_e32 v32, 0x3f7d64f0, v11
	v_mul_f32_e32 v6, 0x3f575c64, v6
	v_add_f32_e32 v30, v30, v34
	v_add_f32_e32 v34, v36, v41
	v_sub_f32_e32 v36, v7, v17
	v_add_f32_e32 v7, v7, v17
	v_add_f32_e32 v32, v32, v39
	v_fmamk_f32 v38, v11, 0xbf0a6770, v6
	v_fma_f32 v31, 0x3f575c64, v44, -v31
	v_add_f32_e32 v17, v45, v16
	v_mul_f32_e32 v39, 0xbf7d64f0, v36
	v_fmac_f32_e32 v6, 0x3f0a6770, v11
	v_sub_f32_e32 v11, v45, v16
	v_mul_f32_e32 v16, 0xbe11bafb, v7
	v_add_f32_e32 v33, v33, v40
	v_fmamk_f32 v40, v17, 0xbe11bafb, v39
	v_add_f32_e32 v2, v31, v2
	v_add_f32_e32 v3, v6, v3
	v_fmamk_f32 v6, v11, 0x3f7d64f0, v16
	v_mul_f32_e32 v31, 0x3e903f40, v36
	v_fmac_f32_e32 v16, 0xbf7d64f0, v11
	v_add_f32_e32 v19, v40, v19
	v_fma_f32 v39, 0xbe11bafb, v17, -v39
	v_add_f32_e32 v6, v6, v24
	v_fmamk_f32 v24, v17, 0xbf75a155, v31
	v_mul_f32_e32 v40, 0xbf75a155, v7
	v_add_f32_e32 v16, v16, v18
	v_mul_f32_e32 v18, 0x3f68dda4, v36
	v_add_f32_e32 v20, v39, v20
	v_add_f32_e32 v22, v24, v22
	v_fmamk_f32 v24, v11, 0xbe903f40, v40
	v_fma_f32 v31, 0xbf75a155, v17, -v31
	v_fmamk_f32 v39, v17, 0x3ed4b147, v18
	v_mul_f32_e32 v41, 0x3ed4b147, v7
	v_fma_f32 v18, 0x3ed4b147, v17, -v18
	v_add_f32_e32 v24, v24, v27
	v_add_f32_e32 v21, v31, v21
	;; [unrolled: 1-line block ×3, first 2 shown]
	v_fmamk_f32 v28, v11, 0xbf68dda4, v41
	v_mul_f32_e32 v31, 0xbf0a6770, v36
	v_fmac_f32_e32 v41, 0x3f68dda4, v11
	v_mul_f32_e32 v39, 0x3f575c64, v7
	v_add_f32_e32 v18, v18, v23
	v_add_f32_e32 v26, v28, v26
	v_fmamk_f32 v28, v17, 0x3f575c64, v31
	v_add_f32_e32 v23, v41, v29
	v_fmamk_f32 v29, v11, 0x3f0a6770, v39
	v_mul_f32_e32 v36, 0xbf4178ce, v36
	v_fma_f32 v31, 0x3f575c64, v17, -v31
	v_fmac_f32_e32 v39, 0xbf0a6770, v11
	v_mul_f32_e32 v7, 0xbf27a4f4, v7
	v_add_f32_e32 v29, v29, v33
	v_fmamk_f32 v33, v17, 0xbf27a4f4, v36
	v_add_f32_e32 v30, v31, v30
	v_add_f32_e32 v31, v39, v32
	v_sub_f32_e32 v32, v10, v15
	v_add_f32_e32 v10, v10, v15
	v_fmac_f32_e32 v40, 0x3e903f40, v11
	v_add_f32_e32 v28, v28, v35
	v_add_f32_e32 v33, v33, v34
	v_fmamk_f32 v34, v11, 0x3f4178ce, v7
	v_add_f32_e32 v35, v8, v14
	v_fmac_f32_e32 v7, 0xbf4178ce, v11
	v_sub_f32_e32 v8, v8, v14
	v_mul_f32_e32 v11, 0xbf27a4f4, v10
	v_mul_f32_e32 v15, 0xbf4178ce, v32
	v_fma_f32 v17, 0xbf27a4f4, v17, -v36
	v_add_f32_e32 v3, v7, v3
	v_add_f32_e32 v25, v40, v25
	v_fmamk_f32 v7, v8, 0x3f4178ce, v11
	v_fmamk_f32 v14, v35, 0xbf27a4f4, v15
	v_fma_f32 v15, 0xbf27a4f4, v35, -v15
	v_add_f32_e32 v2, v17, v2
	v_mul_f32_e32 v17, 0x3f7d64f0, v32
	v_add_f32_e32 v6, v7, v6
	v_mul_f32_e32 v7, 0xbe11bafb, v10
	v_add_f32_e32 v15, v15, v20
	v_add_f32_e32 v14, v14, v19
	v_fmac_f32_e32 v11, 0xbf4178ce, v8
	v_fmamk_f32 v19, v35, 0xbe11bafb, v17
	v_fmamk_f32 v20, v8, 0xbf7d64f0, v7
	v_fma_f32 v17, 0xbe11bafb, v35, -v17
	v_fmac_f32_e32 v7, 0x3f7d64f0, v8
	v_add_f32_e32 v11, v11, v16
	v_mul_f32_e32 v16, 0xbf0a6770, v32
	v_add_f32_e32 v20, v20, v24
	v_mul_f32_e32 v24, 0x3f575c64, v10
	v_add_f32_e32 v17, v17, v21
	v_add_f32_e32 v21, v7, v25
	v_mul_f32_e32 v7, 0xbe903f40, v32
	v_add_f32_e32 v19, v19, v22
	v_fmamk_f32 v25, v8, 0x3f0a6770, v24
	v_fmamk_f32 v22, v35, 0x3f575c64, v16
	v_fmac_f32_e32 v24, 0xbf0a6770, v8
	v_fmamk_f32 v36, v35, 0xbf75a155, v7
	v_fma_f32 v16, 0x3f575c64, v35, -v16
	v_add_f32_e32 v25, v25, v26
	v_mul_f32_e32 v26, 0x3f68dda4, v32
	v_add_f32_e32 v22, v22, v27
	v_mul_f32_e32 v27, 0xbf75a155, v10
	v_add_f32_e32 v24, v24, v23
	v_add_f32_e32 v23, v36, v28
	v_fmamk_f32 v28, v35, 0x3ed4b147, v26
	v_add_f32_e32 v16, v16, v18
	v_fmamk_f32 v18, v8, 0x3e903f40, v27
	v_mul_f32_e32 v10, 0x3ed4b147, v10
	v_fma_f32 v7, 0xbf75a155, v35, -v7
	v_fmac_f32_e32 v27, 0xbe903f40, v8
	v_sub_f32_e32 v32, v12, v13
	v_add_f32_e32 v28, v28, v33
	v_add_f32_e32 v33, v12, v13
	;; [unrolled: 1-line block ×4, first 2 shown]
	v_fmamk_f32 v29, v8, 0xbf68dda4, v10
	v_add_f32_e32 v30, v7, v30
	v_add_f32_e32 v27, v27, v31
	;; [unrolled: 1-line block ×3, first 2 shown]
	v_mul_f32_e32 v7, 0xbe903f40, v32
	v_fma_f32 v12, 0x3ed4b147, v35, -v26
	v_fmac_f32_e32 v10, 0x3f68dda4, v8
	v_sub_f32_e32 v26, v9, v37
	v_mul_f32_e32 v9, 0xbf75a155, v33
	v_add_f32_e32 v34, v34, v38
	v_fmamk_f32 v8, v31, 0xbf75a155, v7
	v_add_f32_e32 v35, v10, v3
	v_mul_f32_e32 v10, 0x3f0a6770, v32
	v_fmamk_f32 v3, v26, 0x3e903f40, v9
	v_fma_f32 v7, 0xbf75a155, v31, -v7
	v_add_f32_e32 v29, v29, v34
	v_add_f32_e32 v34, v12, v2
	;; [unrolled: 1-line block ×3, first 2 shown]
	v_fmac_f32_e32 v9, 0xbe903f40, v26
	v_fmamk_f32 v8, v31, 0x3f575c64, v10
	v_mul_f32_e32 v12, 0x3f575c64, v33
	v_add_f32_e32 v3, v3, v6
	v_add_f32_e32 v6, v7, v15
	v_fma_f32 v10, 0x3f575c64, v31, -v10
	v_mul_f32_e32 v15, 0xbf27a4f4, v33
	v_add_f32_e32 v7, v9, v11
	v_add_f32_e32 v8, v8, v19
	v_fmamk_f32 v9, v26, 0xbf0a6770, v12
	v_mul_f32_e32 v13, 0xbf4178ce, v32
	v_fmac_f32_e32 v12, 0x3f0a6770, v26
	v_add_f32_e32 v10, v10, v17
	v_fmamk_f32 v17, v26, 0x3f4178ce, v15
	v_mul_f32_e32 v19, 0x3f68dda4, v32
	v_add_f32_e32 v9, v9, v20
	v_fmamk_f32 v14, v31, 0xbf27a4f4, v13
	v_add_f32_e32 v11, v12, v21
	v_fma_f32 v20, 0xbf27a4f4, v31, -v13
	v_mul_f32_e32 v21, 0x3ed4b147, v33
	v_add_f32_e32 v13, v17, v25
	v_fmamk_f32 v17, v31, 0x3ed4b147, v19
	v_add_f32_e32 v12, v14, v22
	v_add_f32_e32 v14, v20, v16
	v_fmamk_f32 v20, v26, 0xbf68dda4, v21
	v_mul_f32_e32 v22, 0xbf7d64f0, v32
	v_add_f32_e32 v16, v17, v23
	v_mul_f32_e32 v23, 0xbe11bafb, v33
	v_fma_f32 v19, 0x3ed4b147, v31, -v19
	v_add_f32_e32 v17, v20, v18
	v_fmac_f32_e32 v21, 0x3f68dda4, v26
	v_fmamk_f32 v20, v31, 0xbe11bafb, v22
	v_fmamk_f32 v25, v26, 0x3f7d64f0, v23
	v_fma_f32 v22, 0xbe11bafb, v31, -v22
	v_fmac_f32_e32 v23, 0xbf7d64f0, v26
	v_fmac_f32_e32 v15, 0xbf4178ce, v26
	v_add_f32_e32 v18, v19, v30
	v_add_f32_e32 v19, v21, v27
	;; [unrolled: 1-line block ×7, first 2 shown]
	ds_write2_b64 v99, v[4:5], v[2:3] offset1:55
	ds_write2_b64 v99, v[8:9], v[12:13] offset0:110 offset1:165
	ds_write2_b64 v1, v[16:17], v[20:21] offset0:92 offset1:147
	;; [unrolled: 1-line block ×4, first 2 shown]
	ds_write_b64 v99, v[6:7] offset:4400
	s_waitcnt lgkmcnt(0)
	s_barrier
	buffer_gl0_inv
	ds_read2_b64 v[2:5], v99 offset1:55
	v_mad_u64_u32 v[10:11], null, s10, v74, 0
	v_mad_u64_u32 v[14:15], null, s8, v100, 0
	s_waitcnt lgkmcnt(0)
	v_mul_f32_e32 v6, v94, v3
	v_mul_f32_e32 v7, v94, v2
	;; [unrolled: 1-line block ×4, first 2 shown]
	v_fmac_f32_e32 v6, v93, v2
	v_fma_f32 v7, v93, v3, -v7
	v_fmac_f32_e32 v16, v91, v4
	v_fma_f32 v17, v91, v5, -v17
	v_cvt_f64_f32_e32 v[2:3], v6
	v_cvt_f64_f32_e32 v[6:7], v7
	;; [unrolled: 1-line block ×4, first 2 shown]
	v_mul_f64 v[2:3], v[2:3], s[0:1]
	v_mul_f64 v[12:13], v[6:7], s[0:1]
	ds_read2_b64 v[6:9], v99 offset0:110 offset1:165
	v_mul_f64 v[16:17], v[16:17], s[0:1]
	s_waitcnt lgkmcnt(0)
	v_mul_f32_e32 v22, v90, v7
	v_mad_u64_u32 v[18:19], null, s11, v74, v[11:12]
	v_mov_b32_e32 v11, v15
	v_mul_f32_e32 v15, v90, v6
	v_fmac_f32_e32 v22, v89, v6
	v_cvt_f32_f64_e32 v21, v[12:13]
	v_mad_u64_u32 v[19:20], null, s9, v100, v[11:12]
	v_mov_b32_e32 v11, v18
	v_cvt_f32_f64_e32 v20, v[2:3]
	v_fma_f32 v2, v89, v7, -v15
	v_cvt_f64_f32_e32 v[12:13], v22
	v_lshlrev_b64 v[6:7], 3, v[10:11]
	v_mov_b32_e32 v15, v19
	v_mul_f64 v[10:11], v[4:5], s[0:1]
	v_cvt_f64_f32_e32 v[18:19], v2
	ds_read2_b64 v[1:4], v1 offset0:92 offset1:147
	v_lshlrev_b64 v[14:15], 3, v[14:15]
	v_add_co_u32 v5, vcc_lo, s4, v6
	v_add_co_ci_u32_e32 v6, vcc_lo, s5, v7, vcc_lo
	v_add_co_u32 v14, vcc_lo, v5, v14
	v_add_co_ci_u32_e32 v15, vcc_lo, v6, v15, vcc_lo
	v_mul_f32_e32 v5, v84, v9
	v_mul_f32_e32 v6, v84, v8
	global_store_dwordx2 v[14:15], v[20:21], off
	v_cvt_f32_f64_e32 v21, v[16:17]
	v_fmac_f32_e32 v5, v83, v8
	v_fma_f32 v6, v83, v9, -v6
	v_add_co_u32 v14, vcc_lo, v14, s3
	v_cvt_f32_f64_e32 v20, v[10:11]
	v_mul_f64 v[10:11], v[12:13], s[0:1]
	v_mul_f64 v[12:13], v[18:19], s[0:1]
	s_waitcnt lgkmcnt(0)
	v_mul_f32_e32 v7, v86, v2
	v_mul_f32_e32 v8, v86, v1
	v_cvt_f64_f32_e32 v[16:17], v5
	v_mul_f32_e32 v28, v88, v3
	v_add_co_ci_u32_e32 v15, vcc_lo, s2, v15, vcc_lo
	v_fmac_f32_e32 v7, v85, v1
	v_fma_f32 v5, v85, v2, -v8
	v_cvt_f64_f32_e32 v[1:2], v6
	v_add_co_u32 v26, vcc_lo, v14, s3
	v_cvt_f64_f32_e32 v[18:19], v7
	v_cvt_f64_f32_e32 v[22:23], v5
	ds_read2_b64 v[5:8], v0 offset0:74 offset1:129
	v_add_co_ci_u32_e32 v27, vcc_lo, s2, v15, vcc_lo
	v_cvt_f32_f64_e32 v24, v[10:11]
	v_cvt_f32_f64_e32 v25, v[12:13]
	ds_read2_b64 v[9:12], v0 offset0:184 offset1:239
	v_mul_f32_e32 v13, v88, v4
	v_fma_f32 v4, v87, v4, -v28
	ds_read_b64 v[28:29], v99 offset:4400
	v_mul_f64 v[16:17], v[16:17], s[0:1]
	global_store_dwordx2 v[14:15], v[20:21], off
	global_store_dwordx2 v[26:27], v[24:25], off
	s_waitcnt lgkmcnt(2)
	v_mul_f32_e32 v33, v76, v7
	v_fmac_f32_e32 v13, v87, v3
	v_mul_f32_e32 v32, v76, v8
	v_mul_f64 v[0:1], v[1:2], s[0:1]
	v_mul_f64 v[2:3], v[18:19], s[0:1]
	v_fma_f32 v8, v75, v8, -v33
	v_mul_f64 v[18:19], v[22:23], s[0:1]
	v_cvt_f64_f32_e32 v[22:23], v13
	v_mul_f32_e32 v13, v78, v5
	s_waitcnt lgkmcnt(1)
	v_mul_f32_e32 v36, v73, v10
	v_cvt_f64_f32_e32 v[30:31], v4
	v_mul_f32_e32 v4, v78, v6
	v_cvt_f64_f32_e32 v[34:35], v8
	v_mul_f32_e32 v8, v73, v9
	v_fma_f32 v6, v77, v6, -v13
	v_fmac_f32_e32 v36, v72, v9
	v_mul_f32_e32 v13, v80, v12
	v_mul_f32_e32 v9, v80, v11
	v_fmac_f32_e32 v4, v77, v5
	s_waitcnt lgkmcnt(0)
	v_mul_f32_e32 v38, v82, v29
	v_mul_f32_e32 v39, v82, v28
	v_fmac_f32_e32 v32, v75, v7
	v_fma_f32 v8, v72, v10, -v8
	v_fmac_f32_e32 v13, v79, v11
	v_fma_f32 v12, v79, v12, -v9
	v_cvt_f64_f32_e32 v[4:5], v4
	v_cvt_f64_f32_e32 v[6:7], v6
	v_fmac_f32_e32 v38, v81, v28
	v_fma_f32 v39, v81, v29, -v39
	v_cvt_f64_f32_e32 v[32:33], v32
	v_cvt_f64_f32_e32 v[36:37], v36
	;; [unrolled: 1-line block ×7, first 2 shown]
	v_cvt_f32_f64_e32 v14, v[16:17]
	v_cvt_f32_f64_e32 v15, v[0:1]
	v_mul_f64 v[0:1], v[22:23], s[0:1]
	v_mul_f64 v[16:17], v[30:31], s[0:1]
	v_cvt_f32_f64_e32 v2, v[2:3]
	v_cvt_f32_f64_e32 v3, v[18:19]
	v_mul_f64 v[22:23], v[34:35], s[0:1]
	v_add_co_u32 v20, vcc_lo, v26, s3
	v_add_co_ci_u32_e32 v21, vcc_lo, s2, v27, vcc_lo
	v_mul_f64 v[4:5], v[4:5], s[0:1]
	v_mul_f64 v[6:7], v[6:7], s[0:1]
	v_add_co_u32 v30, vcc_lo, v20, s3
	v_mul_f64 v[18:19], v[32:33], s[0:1]
	v_mul_f64 v[24:25], v[36:37], s[0:1]
	;; [unrolled: 1-line block ×7, first 2 shown]
	v_add_co_ci_u32_e32 v31, vcc_lo, s2, v21, vcc_lo
	v_cvt_f32_f64_e32 v0, v[0:1]
	v_cvt_f32_f64_e32 v1, v[16:17]
	v_add_co_u32 v16, vcc_lo, v30, s3
	v_add_co_ci_u32_e32 v17, vcc_lo, s2, v31, vcc_lo
	global_store_dwordx2 v[20:21], v[14:15], off
	global_store_dwordx2 v[30:31], v[2:3], off
	v_cvt_f32_f64_e32 v4, v[4:5]
	v_cvt_f32_f64_e32 v5, v[6:7]
	v_add_co_u32 v6, vcc_lo, v16, s3
	v_add_co_ci_u32_e32 v7, vcc_lo, s2, v17, vcc_lo
	v_cvt_f32_f64_e32 v18, v[18:19]
	v_cvt_f32_f64_e32 v19, v[22:23]
	;; [unrolled: 1-line block ×8, first 2 shown]
	v_add_co_u32 v12, vcc_lo, v6, s3
	v_add_co_ci_u32_e32 v13, vcc_lo, s2, v7, vcc_lo
	global_store_dwordx2 v[16:17], v[0:1], off
	v_add_co_u32 v14, vcc_lo, v12, s3
	v_add_co_ci_u32_e32 v15, vcc_lo, s2, v13, vcc_lo
	v_add_co_u32 v2, vcc_lo, v14, s3
	v_add_co_ci_u32_e32 v3, vcc_lo, s2, v15, vcc_lo
	;; [unrolled: 2-line block ×3, first 2 shown]
	global_store_dwordx2 v[6:7], v[4:5], off
	global_store_dwordx2 v[12:13], v[18:19], off
	;; [unrolled: 1-line block ×5, first 2 shown]
.LBB0_10:
	s_endpgm
	.section	.rodata,"a",@progbits
	.p2align	6, 0x0
	.amdhsa_kernel bluestein_single_back_len605_dim1_sp_op_CI_CI
		.amdhsa_group_segment_fixed_size 4840
		.amdhsa_private_segment_fixed_size 0
		.amdhsa_kernarg_size 104
		.amdhsa_user_sgpr_count 6
		.amdhsa_user_sgpr_private_segment_buffer 1
		.amdhsa_user_sgpr_dispatch_ptr 0
		.amdhsa_user_sgpr_queue_ptr 0
		.amdhsa_user_sgpr_kernarg_segment_ptr 1
		.amdhsa_user_sgpr_dispatch_id 0
		.amdhsa_user_sgpr_flat_scratch_init 0
		.amdhsa_user_sgpr_private_segment_size 0
		.amdhsa_wavefront_size32 1
		.amdhsa_uses_dynamic_stack 0
		.amdhsa_system_sgpr_private_segment_wavefront_offset 0
		.amdhsa_system_sgpr_workgroup_id_x 1
		.amdhsa_system_sgpr_workgroup_id_y 0
		.amdhsa_system_sgpr_workgroup_id_z 0
		.amdhsa_system_sgpr_workgroup_info 0
		.amdhsa_system_vgpr_workitem_id 0
		.amdhsa_next_free_vgpr 208
		.amdhsa_next_free_sgpr 20
		.amdhsa_reserve_vcc 1
		.amdhsa_reserve_flat_scratch 0
		.amdhsa_float_round_mode_32 0
		.amdhsa_float_round_mode_16_64 0
		.amdhsa_float_denorm_mode_32 3
		.amdhsa_float_denorm_mode_16_64 3
		.amdhsa_dx10_clamp 1
		.amdhsa_ieee_mode 1
		.amdhsa_fp16_overflow 0
		.amdhsa_workgroup_processor_mode 1
		.amdhsa_memory_ordered 1
		.amdhsa_forward_progress 0
		.amdhsa_shared_vgpr_count 0
		.amdhsa_exception_fp_ieee_invalid_op 0
		.amdhsa_exception_fp_denorm_src 0
		.amdhsa_exception_fp_ieee_div_zero 0
		.amdhsa_exception_fp_ieee_overflow 0
		.amdhsa_exception_fp_ieee_underflow 0
		.amdhsa_exception_fp_ieee_inexact 0
		.amdhsa_exception_int_div_zero 0
	.end_amdhsa_kernel
	.text
.Lfunc_end0:
	.size	bluestein_single_back_len605_dim1_sp_op_CI_CI, .Lfunc_end0-bluestein_single_back_len605_dim1_sp_op_CI_CI
                                        ; -- End function
	.section	.AMDGPU.csdata,"",@progbits
; Kernel info:
; codeLenInByte = 14476
; NumSgprs: 22
; NumVgprs: 208
; ScratchSize: 0
; MemoryBound: 0
; FloatMode: 240
; IeeeMode: 1
; LDSByteSize: 4840 bytes/workgroup (compile time only)
; SGPRBlocks: 2
; VGPRBlocks: 25
; NumSGPRsForWavesPerEU: 22
; NumVGPRsForWavesPerEU: 208
; Occupancy: 4
; WaveLimiterHint : 1
; COMPUTE_PGM_RSRC2:SCRATCH_EN: 0
; COMPUTE_PGM_RSRC2:USER_SGPR: 6
; COMPUTE_PGM_RSRC2:TRAP_HANDLER: 0
; COMPUTE_PGM_RSRC2:TGID_X_EN: 1
; COMPUTE_PGM_RSRC2:TGID_Y_EN: 0
; COMPUTE_PGM_RSRC2:TGID_Z_EN: 0
; COMPUTE_PGM_RSRC2:TIDIG_COMP_CNT: 0
	.text
	.p2alignl 6, 3214868480
	.fill 48, 4, 3214868480
	.type	__hip_cuid_723bd9eab8a9ba53,@object ; @__hip_cuid_723bd9eab8a9ba53
	.section	.bss,"aw",@nobits
	.globl	__hip_cuid_723bd9eab8a9ba53
__hip_cuid_723bd9eab8a9ba53:
	.byte	0                               ; 0x0
	.size	__hip_cuid_723bd9eab8a9ba53, 1

	.ident	"AMD clang version 19.0.0git (https://github.com/RadeonOpenCompute/llvm-project roc-6.4.0 25133 c7fe45cf4b819c5991fe208aaa96edf142730f1d)"
	.section	".note.GNU-stack","",@progbits
	.addrsig
	.addrsig_sym __hip_cuid_723bd9eab8a9ba53
	.amdgpu_metadata
---
amdhsa.kernels:
  - .args:
      - .actual_access:  read_only
        .address_space:  global
        .offset:         0
        .size:           8
        .value_kind:     global_buffer
      - .actual_access:  read_only
        .address_space:  global
        .offset:         8
        .size:           8
        .value_kind:     global_buffer
      - .actual_access:  read_only
        .address_space:  global
        .offset:         16
        .size:           8
        .value_kind:     global_buffer
      - .actual_access:  read_only
        .address_space:  global
        .offset:         24
        .size:           8
        .value_kind:     global_buffer
      - .actual_access:  read_only
        .address_space:  global
        .offset:         32
        .size:           8
        .value_kind:     global_buffer
      - .offset:         40
        .size:           8
        .value_kind:     by_value
      - .address_space:  global
        .offset:         48
        .size:           8
        .value_kind:     global_buffer
      - .address_space:  global
        .offset:         56
        .size:           8
        .value_kind:     global_buffer
      - .address_space:  global
        .offset:         64
        .size:           8
        .value_kind:     global_buffer
      - .address_space:  global
        .offset:         72
        .size:           8
        .value_kind:     global_buffer
      - .offset:         80
        .size:           4
        .value_kind:     by_value
      - .address_space:  global
        .offset:         88
        .size:           8
        .value_kind:     global_buffer
      - .address_space:  global
        .offset:         96
        .size:           8
        .value_kind:     global_buffer
    .group_segment_fixed_size: 4840
    .kernarg_segment_align: 8
    .kernarg_segment_size: 104
    .language:       OpenCL C
    .language_version:
      - 2
      - 0
    .max_flat_workgroup_size: 55
    .name:           bluestein_single_back_len605_dim1_sp_op_CI_CI
    .private_segment_fixed_size: 0
    .sgpr_count:     22
    .sgpr_spill_count: 0
    .symbol:         bluestein_single_back_len605_dim1_sp_op_CI_CI.kd
    .uniform_work_group_size: 1
    .uses_dynamic_stack: false
    .vgpr_count:     208
    .vgpr_spill_count: 0
    .wavefront_size: 32
    .workgroup_processor_mode: 1
amdhsa.target:   amdgcn-amd-amdhsa--gfx1030
amdhsa.version:
  - 1
  - 2
...

	.end_amdgpu_metadata
